;; amdgpu-corpus repo=ROCm/rocFFT kind=compiled arch=gfx1030 opt=O3
	.text
	.amdgcn_target "amdgcn-amd-amdhsa--gfx1030"
	.amdhsa_code_object_version 6
	.protected	bluestein_single_back_len693_dim1_sp_op_CI_CI ; -- Begin function bluestein_single_back_len693_dim1_sp_op_CI_CI
	.globl	bluestein_single_back_len693_dim1_sp_op_CI_CI
	.p2align	8
	.type	bluestein_single_back_len693_dim1_sp_op_CI_CI,@function
bluestein_single_back_len693_dim1_sp_op_CI_CI: ; @bluestein_single_back_len693_dim1_sp_op_CI_CI
; %bb.0:
	s_load_dwordx4 s[0:3], s[4:5], 0x28
	v_mul_u32_u24_e32 v1, 0x296, v0
	v_mov_b32_e32 v51, 0
	v_lshrrev_b32_e32 v1, 16, v1
	v_add_nc_u32_e32 v50, s6, v1
	s_waitcnt lgkmcnt(0)
	v_cmp_gt_u64_e32 vcc_lo, s[0:1], v[50:51]
	s_and_saveexec_b32 s0, vcc_lo
	s_cbranch_execz .LBB0_23
; %bb.1:
	s_clause 0x1
	s_load_dwordx2 s[14:15], s[4:5], 0x0
	s_load_dwordx2 s[12:13], s[4:5], 0x38
	v_mul_lo_u16 v1, 0x63, v1
	v_sub_nc_u16 v0, v0, v1
	v_and_b32_e32 v56, 0xffff, v0
	v_cmp_gt_u16_e32 vcc_lo, 63, v0
	v_lshlrev_b32_e32 v55, 3, v56
	s_and_saveexec_b32 s1, vcc_lo
	s_cbranch_execz .LBB0_3
; %bb.2:
	s_load_dwordx2 s[6:7], s[4:5], 0x18
	s_waitcnt lgkmcnt(0)
	v_add_co_u32 v16, s0, s14, v55
	v_add_co_ci_u32_e64 v17, null, s15, 0, s0
	v_add_nc_u32_e32 v46, 0x400, v55
	v_add_nc_u32_e32 v47, 0x800, v55
	;; [unrolled: 1-line block ×3, first 2 shown]
	s_load_dwordx4 s[8:11], s[6:7], 0x0
	s_waitcnt lgkmcnt(0)
	v_mad_u64_u32 v[0:1], null, s10, v50, 0
	v_mad_u64_u32 v[2:3], null, s8, v56, 0
	s_mul_i32 s6, s9, 0x1f8
	s_mul_hi_u32 s7, s8, 0x1f8
	s_add_i32 s7, s7, s6
	v_mad_u64_u32 v[4:5], null, s11, v50, v[1:2]
	v_mad_u64_u32 v[5:6], null, s9, v56, v[3:4]
	v_mov_b32_e32 v1, v4
	v_add_co_u32 v4, s0, 0x800, v16
	s_clause 0x4
	global_load_dwordx2 v[6:7], v55, s[14:15]
	global_load_dwordx2 v[8:9], v55, s[14:15] offset:504
	global_load_dwordx2 v[10:11], v55, s[14:15] offset:1008
	;; [unrolled: 1-line block ×4, first 2 shown]
	v_lshlrev_b64 v[0:1], 3, v[0:1]
	v_mov_b32_e32 v3, v5
	v_add_co_ci_u32_e64 v5, s0, 0, v17, s0
	s_clause 0x3
	global_load_dwordx2 v[20:21], v[4:5], off offset:472
	global_load_dwordx2 v[22:23], v[4:5], off offset:976
	;; [unrolled: 1-line block ×4, first 2 shown]
	v_lshlrev_b64 v[2:3], 3, v[2:3]
	v_add_co_u32 v0, s0, s2, v0
	v_add_co_ci_u32_e64 v1, s0, s3, v1, s0
	s_mul_i32 s2, s8, 0x1f8
	v_add_co_u32 v0, s0, v0, v2
	v_add_co_ci_u32_e64 v1, s0, v1, v3, s0
	v_add_co_u32 v2, s0, v0, s2
	v_add_co_ci_u32_e64 v3, s0, s7, v1, s0
	;; [unrolled: 2-line block ×4, first 2 shown]
	s_clause 0x1
	global_load_dwordx2 v[0:1], v[0:1], off
	global_load_dwordx2 v[2:3], v[2:3], off
	v_add_co_u32 v26, s0, v18, s2
	v_add_co_ci_u32_e64 v27, s0, s7, v19, s0
	v_add_co_u32 v28, s0, v26, s2
	v_add_co_ci_u32_e64 v29, s0, s7, v27, s0
	s_clause 0x1
	global_load_dwordx2 v[18:19], v[18:19], off
	global_load_dwordx2 v[26:27], v[26:27], off
	v_add_co_u32 v30, s0, v28, s2
	v_add_co_ci_u32_e64 v31, s0, s7, v29, s0
	global_load_dwordx2 v[28:29], v[28:29], off
	v_add_co_u32 v32, s0, v30, s2
	v_add_co_ci_u32_e64 v33, s0, s7, v31, s0
	;; [unrolled: 3-line block ×6, first 2 shown]
	global_load_dwordx2 v[38:39], v[38:39], off
	s_clause 0x1
	global_load_dwordx2 v[42:43], v[16:17], off offset:440
	global_load_dwordx2 v[16:17], v[16:17], off offset:944
	global_load_dwordx2 v[40:41], v[40:41], off
	s_waitcnt vmcnt(12)
	v_mul_f32_e32 v44, v1, v7
	v_mul_f32_e32 v45, v0, v7
	s_waitcnt vmcnt(11)
	v_mul_f32_e32 v7, v3, v9
	v_mul_f32_e32 v9, v2, v9
	v_fmac_f32_e32 v44, v0, v6
	v_fma_f32 v45, v1, v6, -v45
	v_fmac_f32_e32 v7, v2, v8
	v_fma_f32 v8, v3, v8, -v9
	s_waitcnt vmcnt(10)
	v_mul_f32_e32 v0, v19, v11
	v_mul_f32_e32 v1, v18, v11
	s_waitcnt vmcnt(9)
	v_mul_f32_e32 v2, v27, v13
	v_mul_f32_e32 v3, v26, v13
	ds_write2_b64 v55, v[44:45], v[7:8] offset1:63
	v_fmac_f32_e32 v0, v18, v10
	s_waitcnt vmcnt(8)
	v_mul_f32_e32 v6, v29, v15
	v_mul_f32_e32 v7, v28, v15
	v_fma_f32 v1, v19, v10, -v1
	v_fmac_f32_e32 v2, v26, v12
	v_fma_f32 v3, v27, v12, -v3
	s_waitcnt vmcnt(7)
	v_mul_f32_e32 v8, v31, v21
	v_mul_f32_e32 v9, v30, v21
	v_fmac_f32_e32 v6, v28, v14
	v_fma_f32 v7, v29, v14, -v7
	s_waitcnt vmcnt(6)
	v_mul_f32_e32 v10, v33, v23
	v_mul_f32_e32 v11, v32, v23
	;; [unrolled: 5-line block ×4, first 2 shown]
	v_fmac_f32_e32 v12, v34, v24
	s_waitcnt vmcnt(2)
	v_mul_f32_e32 v18, v39, v43
	v_mul_f32_e32 v19, v38, v43
	s_waitcnt vmcnt(0)
	v_mul_f32_e32 v20, v41, v17
	v_mul_f32_e32 v17, v40, v17
	v_fma_f32 v13, v35, v24, -v13
	v_fmac_f32_e32 v14, v36, v4
	v_fma_f32 v15, v37, v4, -v5
	v_fmac_f32_e32 v18, v38, v42
	;; [unrolled: 2-line block ×3, first 2 shown]
	v_fma_f32 v21, v41, v16, -v17
	ds_write2_b64 v55, v[0:1], v[2:3] offset0:126 offset1:189
	ds_write2_b64 v46, v[6:7], v[8:9] offset0:124 offset1:187
	;; [unrolled: 1-line block ×4, first 2 shown]
	ds_write_b64 v55, v[20:21] offset:5040
.LBB0_3:
	s_or_b32 exec_lo, exec_lo, s1
	s_clause 0x1
	s_load_dwordx2 s[0:1], s[4:5], 0x20
	s_load_dwordx2 s[2:3], s[4:5], 0x8
	v_mov_b32_e32 v8, 0
	v_mov_b32_e32 v9, 0
	s_waitcnt lgkmcnt(0)
	s_barrier
	buffer_gl0_inv
                                        ; implicit-def: $vgpr12
                                        ; implicit-def: $vgpr4
                                        ; implicit-def: $vgpr24
                                        ; implicit-def: $vgpr18
                                        ; implicit-def: $vgpr22
	s_and_saveexec_b32 s4, vcc_lo
	s_cbranch_execz .LBB0_5
; %bb.4:
	v_add_nc_u32_e32 v0, 0x400, v55
	v_add_nc_u32_e32 v1, 0x800, v55
	;; [unrolled: 1-line block ×3, first 2 shown]
	ds_read2_b64 v[8:11], v55 offset1:63
	ds_read2_b64 v[20:23], v55 offset0:126 offset1:189
	ds_read2_b64 v[16:19], v0 offset0:124 offset1:187
	ds_read2_b64 v[12:15], v1 offset0:122 offset1:185
	ds_read2_b64 v[4:7], v2 offset0:120 offset1:183
	ds_read_b64 v[24:25], v55 offset:5040
.LBB0_5:
	s_or_b32 exec_lo, exec_lo, s4
	s_waitcnt lgkmcnt(0)
	v_sub_f32_e32 v59, v11, v25
	v_add_f32_e32 v26, v24, v10
	v_sub_f32_e32 v65, v21, v7
	v_sub_f32_e32 v64, v10, v24
	v_add_f32_e32 v28, v6, v20
	v_mul_f32_e32 v32, 0xbf0a6770, v59
	v_sub_f32_e32 v68, v23, v5
	v_mul_f32_e32 v37, 0xbf68dda4, v65
	v_add_f32_e32 v27, v25, v11
	v_mul_f32_e32 v33, 0xbf0a6770, v64
	v_fmamk_f32 v0, v26, 0x3f575c64, v32
	v_sub_f32_e32 v67, v20, v6
	v_fmamk_f32 v2, v28, 0x3ed4b147, v37
	v_add_f32_e32 v30, v4, v22
	v_mul_f32_e32 v40, 0xbf7d64f0, v68
	v_add_f32_e32 v0, v0, v8
	v_sub_f32_e32 v70, v17, v15
	v_fma_f32 v1, 0x3f575c64, v27, -v33
	v_add_f32_e32 v29, v7, v21
	v_mul_f32_e32 v38, 0xbf68dda4, v67
	v_sub_f32_e32 v69, v22, v4
	v_add_f32_e32 v0, v2, v0
	v_fmamk_f32 v2, v30, 0xbe11bafb, v40
	v_add_f32_e32 v36, v14, v16
	v_mul_f32_e32 v44, 0xbf4178ce, v70
	v_add_f32_e32 v1, v1, v9
	v_mul_f32_e32 v46, 0xbf68dda4, v59
	v_fma_f32 v3, 0x3ed4b147, v29, -v38
	v_add_f32_e32 v31, v5, v23
	v_mul_f32_e32 v42, 0xbf7d64f0, v69
	v_sub_f32_e32 v75, v16, v14
	v_add_f32_e32 v0, v2, v0
	v_fmamk_f32 v2, v36, 0xbf27a4f4, v44
	v_mul_f32_e32 v62, 0xbf68dda4, v64
	v_add_f32_e32 v1, v3, v1
	v_fma_f32 v3, 0xbe11bafb, v31, -v42
	v_add_f32_e32 v39, v15, v17
	v_mul_f32_e32 v45, 0xbf4178ce, v75
	v_sub_f32_e32 v76, v19, v13
	v_fmamk_f32 v34, v26, 0x3ed4b147, v46
	v_add_f32_e32 v0, v2, v0
	v_mul_f32_e32 v49, 0xbf4178ce, v65
	v_fma_f32 v2, 0x3ed4b147, v27, -v62
	v_mul_f32_e32 v63, 0xbf4178ce, v67
	v_add_f32_e32 v1, v3, v1
	v_sub_f32_e32 v77, v18, v12
	v_fma_f32 v3, 0xbf27a4f4, v39, -v45
	v_add_f32_e32 v41, v12, v18
	v_mul_f32_e32 v47, 0xbe903f40, v76
	v_add_f32_e32 v34, v34, v8
	v_fmamk_f32 v35, v28, 0xbf27a4f4, v49
	v_add_f32_e32 v2, v2, v9
	v_fma_f32 v51, 0xbf27a4f4, v29, -v63
	v_mul_f32_e32 v53, 0x3e903f40, v68
	v_mul_f32_e32 v60, 0x3e903f40, v69
	v_add_f32_e32 v43, v13, v19
	v_mul_f32_e32 v48, 0xbe903f40, v77
	v_add_f32_e32 v1, v3, v1
	v_fmamk_f32 v3, v41, 0xbf75a155, v47
	v_add_f32_e32 v34, v35, v34
	v_add_f32_e32 v2, v51, v2
	v_fmamk_f32 v35, v30, 0xbf75a155, v53
	v_mul_f32_e32 v58, 0x3f7d64f0, v70
	v_fma_f32 v54, 0xbf75a155, v31, -v60
	v_mul_f32_e32 v61, 0x3f7d64f0, v75
	v_fma_f32 v52, 0xbf75a155, v43, -v48
	v_add_f32_e32 v51, v3, v0
	v_add_f32_e32 v0, v35, v34
	v_fmamk_f32 v3, v36, 0xbe11bafb, v58
	v_add_f32_e32 v2, v54, v2
	v_fma_f32 v34, 0xbe11bafb, v39, -v61
	v_mul_f32_e32 v71, 0xbf7d64f0, v59
	v_mul_f32_e32 v80, 0xbf7d64f0, v64
	v_add_f32_e32 v52, v52, v1
	v_add_f32_e32 v0, v3, v0
	;; [unrolled: 1-line block ×3, first 2 shown]
	v_fmamk_f32 v2, v26, 0xbe11bafb, v71
	v_mul_f32_e32 v73, 0x3e903f40, v65
	v_fma_f32 v3, 0xbe11bafb, v27, -v80
	v_mul_f32_e32 v82, 0x3e903f40, v67
	v_mul_f32_e32 v74, 0x3f68dda4, v68
	v_add_f32_e32 v2, v2, v8
	v_fmamk_f32 v34, v28, 0xbf75a155, v73
	v_add_f32_e32 v3, v3, v9
	v_fma_f32 v35, 0xbf75a155, v29, -v82
	v_mul_f32_e32 v78, 0x3f68dda4, v69
	v_mul_f32_e32 v54, 0x3f0a6770, v76
	v_add_f32_e32 v2, v34, v2
	v_fmamk_f32 v34, v30, 0x3ed4b147, v74
	v_add_f32_e32 v3, v35, v3
	v_fma_f32 v35, 0x3ed4b147, v31, -v78
	v_mul_f32_e32 v72, 0xbf0a6770, v70
	v_mul_f32_e32 v79, 0xbf0a6770, v75
	v_fmamk_f32 v57, v41, 0x3f575c64, v54
	v_add_f32_e32 v34, v34, v2
	v_add_f32_e32 v3, v35, v3
	v_fmamk_f32 v35, v36, 0x3f575c64, v72
	v_fma_f32 v81, 0x3f575c64, v39, -v79
	v_mul_f32_e32 v84, 0xbf4178ce, v59
	v_mul_f32_e32 v92, 0xbf4178ce, v64
	v_add_f32_e32 v2, v57, v0
	v_add_f32_e32 v0, v35, v34
	;; [unrolled: 1-line block ×3, first 2 shown]
	v_fmamk_f32 v3, v26, 0xbf27a4f4, v84
	v_mul_f32_e32 v87, 0x3f7d64f0, v65
	v_fma_f32 v35, 0xbf27a4f4, v27, -v92
	v_mul_f32_e32 v93, 0x3f7d64f0, v67
	v_mul_f32_e32 v88, 0xbf0a6770, v68
	v_add_f32_e32 v3, v3, v8
	v_fmamk_f32 v57, v28, 0xbe11bafb, v87
	v_add_f32_e32 v35, v35, v9
	v_fma_f32 v83, 0xbe11bafb, v29, -v93
	v_mul_f32_e32 v90, 0xbf0a6770, v69
	v_mul_f32_e32 v85, 0xbe903f40, v70
	v_add_f32_e32 v3, v57, v3
	v_fmamk_f32 v57, v30, 0x3f575c64, v88
	v_add_f32_e32 v35, v83, v35
	v_fma_f32 v86, 0x3f575c64, v31, -v90
	v_mul_f32_e32 v91, 0xbe903f40, v75
	v_mul_f32_e32 v66, 0x3f0a6770, v77
	;; [unrolled: 1-line block ×4, first 2 shown]
	v_add_f32_e32 v3, v57, v3
	v_add_f32_e32 v35, v86, v35
	v_fmamk_f32 v57, v36, 0xbf75a155, v85
	v_fma_f32 v96, 0xbf75a155, v39, -v91
	v_mul_f32_e32 v86, 0x3f68dda4, v76
	v_mul_f32_e32 v89, 0x3f68dda4, v77
	v_fma_f32 v94, 0x3f575c64, v43, -v66
	v_fmamk_f32 v95, v41, 0xbf27a4f4, v81
	v_fma_f32 v97, 0xbf27a4f4, v43, -v83
	v_add_f32_e32 v57, v57, v3
	v_add_f32_e32 v35, v96, v35
	v_fmamk_f32 v96, v41, 0x3ed4b147, v86
	v_fma_f32 v98, 0x3ed4b147, v43, -v89
	v_add_f32_e32 v3, v94, v1
	v_add_f32_e32 v0, v95, v0
	;; [unrolled: 1-line block ×5, first 2 shown]
	v_mul_lo_u16 v57, v56, 11
	s_barrier
	buffer_gl0_inv
	s_and_saveexec_b32 s4, vcc_lo
	s_cbranch_execz .LBB0_7
; %bb.6:
	v_mul_f32_e32 v94, 0xbe903f40, v64
	v_mul_f32_e32 v96, 0xbe903f40, v59
	;; [unrolled: 1-line block ×5, first 2 shown]
	v_fmamk_f32 v59, v27, 0xbf75a155, v94
	v_fma_f32 v64, 0xbf75a155, v26, -v96
	v_mul_f32_e32 v98, 0xbf4178ce, v68
	v_fmamk_f32 v65, v29, 0x3f575c64, v95
	v_fma_f32 v67, 0x3f575c64, v28, -v97
	v_add_f32_e32 v59, v59, v9
	v_add_f32_e32 v64, v64, v8
	v_mul_f32_e32 v75, 0x3f68dda4, v75
	v_fmamk_f32 v68, v31, 0xbf27a4f4, v69
	v_mul_f32_e32 v70, 0x3f68dda4, v70
	v_add_f32_e32 v59, v65, v59
	v_fma_f32 v65, 0xbf27a4f4, v30, -v98
	v_add_f32_e32 v64, v67, v64
	v_fmamk_f32 v67, v39, 0x3ed4b147, v75
	v_fma_f32 v99, 0x3ed4b147, v36, -v70
	v_add_f32_e32 v59, v68, v59
	v_mul_f32_e32 v68, 0xbe11bafb, v29
	v_add_f32_e32 v64, v65, v64
	v_mul_f32_e32 v65, 0xbf27a4f4, v27
	v_mul_f32_e32 v77, 0xbf7d64f0, v77
	v_add_f32_e32 v59, v67, v59
	v_add_f32_e32 v67, v93, v68
	v_mul_f32_e32 v68, 0xbf27a4f4, v26
	v_add_f32_e32 v65, v92, v65
	v_add_f32_e32 v64, v99, v64
	v_mul_f32_e32 v92, 0x3f575c64, v31
	v_mul_f32_e32 v99, 0xbe11bafb, v28
	v_sub_f32_e32 v68, v68, v84
	v_add_f32_e32 v65, v65, v9
	v_fmamk_f32 v93, v43, 0xbe11bafb, v77
	v_mul_f32_e32 v84, 0xbf75a155, v39
	v_sub_f32_e32 v87, v99, v87
	v_add_f32_e32 v68, v68, v8
	v_add_f32_e32 v65, v67, v65
	;; [unrolled: 1-line block ×3, first 2 shown]
	v_mul_f32_e32 v90, 0x3f575c64, v30
	v_add_f32_e32 v84, v91, v84
	v_add_f32_e32 v68, v87, v68
	v_add_f32_e32 v11, v11, v9
	v_add_f32_e32 v67, v67, v65
	v_sub_f32_e32 v87, v90, v88
	v_add_f32_e32 v65, v93, v59
	v_mul_f32_e32 v59, 0xbf75a155, v36
	v_mul_f32_e32 v88, 0xbf75a155, v29
	v_add_f32_e32 v67, v84, v67
	v_add_f32_e32 v68, v87, v68
	v_mul_f32_e32 v87, 0xbe11bafb, v27
	v_mul_f32_e32 v84, 0x3ed4b147, v43
	v_sub_f32_e32 v59, v59, v85
	v_mul_f32_e32 v85, 0x3ed4b147, v41
	v_add_f32_e32 v82, v82, v88
	v_add_f32_e32 v80, v80, v87
	;; [unrolled: 1-line block ×4, first 2 shown]
	v_sub_f32_e32 v85, v85, v86
	v_mul_f32_e32 v86, 0xbe11bafb, v26
	v_add_f32_e32 v80, v80, v9
	v_add_f32_e32 v68, v84, v67
	;; [unrolled: 1-line block ×4, first 2 shown]
	v_mul_f32_e32 v59, 0x3ed4b147, v31
	v_add_f32_e32 v80, v82, v80
	v_mul_f32_e32 v82, 0xbf75a155, v28
	v_sub_f32_e32 v71, v86, v71
	v_mul_f32_e32 v85, 0x3f575c64, v27
	v_add_f32_e32 v59, v78, v59
	v_mul_f32_e32 v78, 0x3f575c64, v39
	v_sub_f32_e32 v73, v82, v73
	v_add_f32_e32 v71, v71, v8
	v_mul_f32_e32 v82, 0x3ed4b147, v26
	v_add_f32_e32 v59, v59, v80
	v_mul_f32_e32 v80, 0x3ed4b147, v30
	v_add_f32_e32 v78, v79, v78
	v_add_f32_e32 v71, v73, v71
	v_mul_f32_e32 v73, 0xbf27a4f4, v43
	v_mul_f32_e32 v79, 0x3ed4b147, v27
	v_sub_f32_e32 v74, v80, v74
	v_sub_f32_e32 v46, v82, v46
	v_add_f32_e32 v59, v78, v59
	v_add_f32_e32 v73, v83, v73
	v_mul_f32_e32 v83, 0x3f575c64, v36
	v_add_f32_e32 v71, v74, v71
	v_mul_f32_e32 v74, 0xbf27a4f4, v29
	;; [unrolled: 2-line block ×3, first 2 shown]
	v_sub_f32_e32 v72, v83, v72
	v_mul_f32_e32 v83, 0xbf27a4f4, v41
	v_add_f32_e32 v63, v63, v74
	v_add_f32_e32 v62, v62, v9
	v_sub_f32_e32 v49, v79, v49
	v_add_f32_e32 v46, v46, v8
	v_sub_f32_e32 v81, v83, v81
	v_mul_f32_e32 v83, 0xbf75a155, v31
	v_add_f32_e32 v62, v63, v62
	v_mul_f32_e32 v63, 0xbf75a155, v30
	v_add_f32_e32 v46, v49, v46
	;; [unrolled: 2-line block ×3, first 2 shown]
	v_mul_f32_e32 v83, 0xbe11bafb, v39
	v_sub_f32_e32 v53, v63, v53
	v_mul_f32_e32 v78, 0x3ed4b147, v29
	v_add_f32_e32 v49, v66, v49
	v_add_f32_e32 v60, v60, v62
	v_mul_f32_e32 v62, 0xbe11bafb, v36
	v_add_f32_e32 v61, v61, v83
	v_add_f32_e32 v46, v53, v46
	;; [unrolled: 1-line block ×3, first 2 shown]
	v_mul_f32_e32 v72, 0xbe11bafb, v31
	v_sub_f32_e32 v53, v62, v58
	v_add_f32_e32 v60, v61, v60
	v_add_f32_e32 v62, v33, v85
	;; [unrolled: 1-line block ×7, first 2 shown]
	v_mul_f32_e32 v79, 0xbf27a4f4, v39
	v_add_f32_e32 v10, v20, v10
	v_add_f32_e32 v11, v17, v11
	v_mul_f32_e32 v63, 0xbf75a155, v43
	v_add_f32_e32 v21, v38, v49
	v_add_f32_e32 v38, v42, v72
	;; [unrolled: 1-line block ×4, first 2 shown]
	v_mul_f32_e32 v84, 0x3f575c64, v26
	v_add_f32_e32 v19, v48, v63
	v_add_f32_e32 v20, v38, v21
	;; [unrolled: 1-line block ×5, first 2 shown]
	v_mul_f32_e32 v80, 0x3ed4b147, v28
	v_sub_f32_e32 v32, v84, v32
	v_add_f32_e32 v20, v21, v20
	v_add_f32_e32 v18, v18, v10
	;; [unrolled: 1-line block ×3, first 2 shown]
	v_fmac_f32_e32 v96, 0xbf75a155, v26
	v_mul_f32_e32 v74, 0xbe11bafb, v30
	v_add_f32_e32 v11, v19, v20
	v_fma_f32 v19, 0xbf75a155, v27, -v94
	v_add_f32_e32 v32, v32, v8
	v_sub_f32_e32 v37, v80, v37
	v_add_f32_e32 v12, v12, v18
	v_fma_f32 v15, 0x3f575c64, v29, -v95
	v_add_f32_e32 v9, v19, v9
	v_add_f32_e32 v5, v5, v13
	;; [unrolled: 1-line block ×3, first 2 shown]
	v_fmac_f32_e32 v97, 0x3f575c64, v28
	v_mul_f32_e32 v82, 0xbf27a4f4, v36
	v_add_f32_e32 v32, v37, v32
	v_sub_f32_e32 v23, v74, v40
	v_add_f32_e32 v12, v14, v12
	v_add_f32_e32 v9, v15, v9
	v_fma_f32 v13, 0xbf27a4f4, v31, -v69
	v_add_f32_e32 v5, v7, v5
	v_add_f32_e32 v7, v97, v8
	v_fmac_f32_e32 v98, 0xbf27a4f4, v30
	v_mul_f32_e32 v83, 0xbf75a155, v41
	v_add_f32_e32 v17, v23, v32
	v_sub_f32_e32 v22, v82, v44
	v_add_f32_e32 v4, v4, v12
	v_add_f32_e32 v8, v13, v9
	v_fma_f32 v9, 0x3ed4b147, v39, -v75
	v_mul_f32_e32 v61, 0x3f575c64, v41
	v_mul_f32_e32 v76, 0xbf7d64f0, v76
	v_add_f32_e32 v7, v98, v7
	v_fmac_f32_e32 v70, 0x3ed4b147, v36
	v_add_f32_e32 v16, v22, v17
	v_sub_f32_e32 v17, v83, v47
	v_add_f32_e32 v4, v6, v4
	v_add_f32_e32 v6, v9, v8
	v_mov_b32_e32 v8, 3
	v_add_f32_e32 v46, v53, v46
	v_sub_f32_e32 v53, v61, v54
	v_fma_f32 v92, 0xbe11bafb, v41, -v76
	v_fma_f32 v9, 0xbe11bafb, v43, -v77
	v_add_f32_e32 v12, v70, v7
	v_fmac_f32_e32 v76, 0xbe11bafb, v41
	v_add_f32_e32 v10, v17, v16
	v_add_f32_e32 v5, v25, v5
	;; [unrolled: 1-line block ×3, first 2 shown]
	v_lshlrev_b32_sdwa v8, v8, v57 dst_sel:DWORD dst_unused:UNUSED_PAD src0_sel:DWORD src1_sel:WORD_0
	v_add_f32_e32 v59, v73, v59
	v_add_f32_e32 v58, v81, v71
	v_add_f32_e32 v32, v53, v46
	v_add_f32_e32 v64, v92, v64
	v_add_f32_e32 v7, v9, v6
	v_add_f32_e32 v6, v76, v12
	ds_write2_b64 v8, v[4:5], v[10:11] offset1:1
	ds_write2_b64 v8, v[32:33], v[58:59] offset0:2 offset1:3
	ds_write2_b64 v8, v[67:68], v[64:65] offset0:4 offset1:5
	;; [unrolled: 1-line block ×4, first 2 shown]
	ds_write_b64 v8, v[51:52] offset:80
.LBB0_7:
	s_or_b32 exec_lo, exec_lo, s4
	v_and_b32_e32 v4, 0xff, v56
	s_load_dwordx4 s[4:7], s[0:1], 0x0
	s_waitcnt lgkmcnt(0)
	s_barrier
	buffer_gl0_inv
	v_mul_lo_u16 v4, 0x75, v4
	v_add_nc_u32_e32 v21, 0x400, v55
	v_add_nc_u32_e32 v16, 0x800, v55
	v_mov_b32_e32 v33, 0x4d
	v_cmp_gt_u16_e64 s0, 0x4d, v56
	v_lshrrev_b16 v4, 8, v4
	v_sub_nc_u16 v5, v56, v4
	v_lshrrev_b16 v5, 1, v5
	v_and_b32_e32 v5, 0x7f, v5
	v_add_nc_u16 v4, v5, v4
	v_lshrrev_b16 v31, 3, v4
	v_mul_lo_u16 v4, v31, 11
	v_mul_u32_u24_sdwa v31, v31, v33 dst_sel:DWORD dst_unused:UNUSED_PAD src0_sel:WORD_0 src1_sel:DWORD
	v_sub_nc_u16 v4, v56, v4
	v_and_b32_e32 v32, 0xff, v4
	v_mul_u32_u24_e32 v4, 6, v32
	v_add_lshl_u32 v58, v31, v32, 3
	v_lshlrev_b32_e32 v4, 3, v4
	s_clause 0x2
	global_load_dwordx4 v[12:15], v4, s[2:3]
	global_load_dwordx4 v[8:11], v4, s[2:3] offset:16
	global_load_dwordx4 v[4:7], v4, s[2:3] offset:32
	ds_read2_b64 v[17:20], v55 offset1:99
	ds_read2_b64 v[21:24], v21 offset0:70 offset1:169
	ds_read2_b64 v[25:28], v16 offset0:140 offset1:239
	ds_read_b64 v[29:30], v55 offset:4752
	s_waitcnt vmcnt(0) lgkmcnt(0)
	s_barrier
	buffer_gl0_inv
	v_mul_f32_e32 v31, v20, v13
	v_mul_f32_e32 v32, v19, v13
	;; [unrolled: 1-line block ×12, first 2 shown]
	v_fma_f32 v19, v19, v12, -v31
	v_fmac_f32_e32 v32, v20, v12
	v_fma_f32 v20, v21, v14, -v33
	v_fmac_f32_e32 v36, v22, v14
	;; [unrolled: 2-line block ×6, first 2 shown]
	v_add_f32_e32 v25, v19, v23
	v_add_f32_e32 v26, v32, v44
	;; [unrolled: 1-line block ×4, first 2 shown]
	v_sub_f32_e32 v19, v19, v23
	v_sub_f32_e32 v23, v32, v44
	;; [unrolled: 1-line block ×4, first 2 shown]
	v_add_f32_e32 v29, v21, v22
	v_add_f32_e32 v30, v38, v40
	v_sub_f32_e32 v21, v22, v21
	v_sub_f32_e32 v22, v40, v38
	v_add_f32_e32 v31, v27, v25
	v_add_f32_e32 v32, v28, v26
	v_sub_f32_e32 v33, v27, v25
	v_sub_f32_e32 v36, v28, v26
	;; [unrolled: 1-line block ×6, first 2 shown]
	v_add_f32_e32 v37, v21, v20
	v_add_f32_e32 v38, v22, v24
	v_sub_f32_e32 v39, v21, v20
	v_sub_f32_e32 v40, v22, v24
	;; [unrolled: 1-line block ×4, first 2 shown]
	v_add_f32_e32 v29, v29, v31
	v_add_f32_e32 v30, v30, v32
	v_sub_f32_e32 v21, v19, v21
	v_sub_f32_e32 v22, v23, v22
	v_add_f32_e32 v19, v37, v19
	v_add_f32_e32 v23, v38, v23
	v_mul_f32_e32 v25, 0x3f4a47b2, v25
	v_mul_f32_e32 v26, 0x3f4a47b2, v26
	;; [unrolled: 1-line block ×8, first 2 shown]
	v_add_f32_e32 v40, v17, v29
	v_add_f32_e32 v41, v18, v30
	v_fmamk_f32 v17, v27, 0x3d64c772, v25
	v_fmamk_f32 v18, v28, 0x3d64c772, v26
	v_fma_f32 v27, 0x3f3bfb3b, v33, -v31
	v_fma_f32 v28, 0x3f3bfb3b, v36, -v32
	;; [unrolled: 1-line block ×4, first 2 shown]
	v_fmamk_f32 v31, v21, 0x3eae86e6, v37
	v_fmamk_f32 v32, v22, 0x3eae86e6, v38
	v_fma_f32 v20, 0x3f5ff5aa, v20, -v37
	v_fma_f32 v24, 0x3f5ff5aa, v24, -v38
	;; [unrolled: 1-line block ×4, first 2 shown]
	v_fmamk_f32 v29, v29, 0xbf955555, v40
	v_fmamk_f32 v30, v30, 0xbf955555, v41
	v_fmac_f32_e32 v31, 0x3ee1c552, v19
	v_fmac_f32_e32 v32, 0x3ee1c552, v23
	;; [unrolled: 1-line block ×6, first 2 shown]
	v_add_f32_e32 v17, v17, v29
	v_add_f32_e32 v18, v18, v30
	;; [unrolled: 1-line block ×7, first 2 shown]
	v_sub_f32_e32 v43, v18, v31
	v_add_f32_e32 v36, v22, v23
	v_sub_f32_e32 v37, v25, v21
	v_sub_f32_e32 v38, v19, v24
	v_add_f32_e32 v39, v20, v26
	v_add_f32_e32 v44, v24, v19
	v_sub_f32_e32 v45, v26, v20
	v_sub_f32_e32 v46, v23, v22
	v_add_f32_e32 v47, v21, v25
	v_sub_f32_e32 v32, v17, v32
	v_add_f32_e32 v33, v31, v18
	ds_write2_b64 v58, v[40:41], v[42:43] offset1:11
	ds_write2_b64 v58, v[36:37], v[38:39] offset0:22 offset1:33
	ds_write2_b64 v58, v[44:45], v[46:47] offset0:44 offset1:55
	ds_write_b64 v58, v[32:33] offset:528
	s_waitcnt lgkmcnt(0)
	s_barrier
	buffer_gl0_inv
	s_and_saveexec_b32 s1, s0
	s_cbranch_execz .LBB0_9
; %bb.8:
	v_add_nc_u32_e32 v0, 0xc00, v55
	ds_read2_b64 v[40:43], v55 offset1:77
	ds_read2_b64 v[36:39], v55 offset0:154 offset1:231
	ds_read2_b64 v[44:47], v16 offset0:52 offset1:129
	;; [unrolled: 1-line block ×3, first 2 shown]
	ds_read_b64 v[0:1], v55 offset:4928
.LBB0_9:
	s_or_b32 exec_lo, exec_lo, s1
	v_add_co_u32 v16, s1, 0xfffffd98, v55
	v_add_co_ci_u32_e64 v17, null, 0, -1, s1
	v_cndmask_b32_e64 v16, v16, v55, s0
	v_cndmask_b32_e64 v17, v17, 0, s0
	v_lshlrev_b64 v[16:17], 3, v[16:17]
	v_add_co_u32 v20, s1, s2, v16
	v_add_co_ci_u32_e64 v21, s1, s3, v17, s1
	s_clause 0x3
	global_load_dwordx4 v[16:19], v[20:21], off offset:528
	global_load_dwordx4 v[24:27], v[20:21], off offset:544
	;; [unrolled: 1-line block ×4, first 2 shown]
	s_waitcnt vmcnt(3) lgkmcnt(4)
	v_mul_f32_e32 v48, v43, v17
	v_mul_f32_e32 v49, v42, v17
	s_waitcnt lgkmcnt(3)
	v_mul_f32_e32 v53, v37, v19
	v_mul_f32_e32 v54, v36, v19
	s_waitcnt vmcnt(2)
	v_mul_f32_e32 v59, v39, v25
	s_waitcnt lgkmcnt(2)
	v_mul_f32_e32 v61, v45, v27
	v_mul_f32_e32 v62, v44, v27
	s_waitcnt vmcnt(1)
	v_mul_f32_e32 v63, v47, v29
	v_mul_f32_e32 v64, v46, v29
	s_waitcnt lgkmcnt(1)
	v_mul_f32_e32 v65, v33, v31
	s_waitcnt vmcnt(0)
	v_mul_f32_e32 v67, v35, v21
	v_mul_f32_e32 v68, v34, v21
	s_waitcnt lgkmcnt(0)
	v_mul_f32_e32 v69, v1, v23
	v_mul_f32_e32 v70, v0, v23
	;; [unrolled: 1-line block ×4, first 2 shown]
	v_fma_f32 v42, v42, v16, -v48
	v_fmac_f32_e32 v49, v43, v16
	v_fma_f32 v36, v36, v18, -v53
	v_fmac_f32_e32 v54, v37, v18
	v_fma_f32 v37, v38, v24, -v59
	v_fma_f32 v43, v44, v26, -v61
	v_fmac_f32_e32 v62, v45, v26
	v_fma_f32 v44, v46, v28, -v63
	v_fmac_f32_e32 v64, v47, v28
	v_fma_f32 v32, v32, v30, -v65
	v_fma_f32 v0, v0, v22, -v69
	v_fmac_f32_e32 v70, v1, v22
	v_fma_f32 v1, v34, v20, -v67
	v_fmac_f32_e32 v68, v35, v20
	v_fmac_f32_e32 v60, v39, v24
	;; [unrolled: 1-line block ×3, first 2 shown]
	v_add_f32_e32 v45, v42, v0
	v_add_f32_e32 v46, v49, v70
	;; [unrolled: 1-line block ×5, first 2 shown]
	v_sub_f32_e32 v0, v42, v0
	v_sub_f32_e32 v42, v49, v70
	;; [unrolled: 1-line block ×5, first 2 shown]
	v_add_f32_e32 v48, v60, v66
	v_sub_f32_e32 v1, v36, v1
	v_sub_f32_e32 v33, v54, v68
	;; [unrolled: 1-line block ×3, first 2 shown]
	v_add_f32_e32 v53, v43, v44
	v_add_f32_e32 v54, v62, v64
	v_mul_f32_e32 v59, 0x3f248dbb, v0
	v_mul_f32_e32 v60, 0x3f248dbb, v42
	;; [unrolled: 1-line block ×4, first 2 shown]
	v_add_f32_e32 v71, v34, v45
	v_add_f32_e32 v72, v35, v46
	v_mul_f32_e32 v73, 0x3f7c1c5c, v37
	v_mul_f32_e32 v74, 0x3f7c1c5c, v49
	v_fmac_f32_e32 v59, 0x3f7c1c5c, v1
	v_fmac_f32_e32 v60, 0x3f7c1c5c, v33
	;; [unrolled: 1-line block ×4, first 2 shown]
	v_add_f32_e32 v75, v53, v71
	v_add_f32_e32 v76, v54, v72
	v_fma_f32 v73, 0xbf248dbb, v1, -v73
	v_fma_f32 v74, 0xbf248dbb, v33, -v74
	v_add_f32_e32 v71, v47, v71
	v_add_f32_e32 v72, v48, v72
	v_fmac_f32_e32 v59, 0x3f5db3d7, v32
	v_fmac_f32_e32 v60, 0x3f5db3d7, v36
	;; [unrolled: 1-line block ×6, first 2 shown]
	v_add_f32_e32 v32, v43, v71
	v_add_f32_e32 v36, v62, v72
	;; [unrolled: 1-line block ×3, first 2 shown]
	v_fmamk_f32 v61, v45, 0x3f441b7d, v40
	v_fmamk_f32 v63, v46, 0x3f441b7d, v41
	v_add_f32_e32 v32, v44, v32
	v_add_f32_e32 v36, v64, v36
	v_fmamk_f32 v67, v53, 0x3f441b7d, v40
	v_fmamk_f32 v68, v54, 0x3f441b7d, v41
	v_add_f32_e32 v38, v40, v47
	v_add_f32_e32 v39, v41, v48
	v_sub_f32_e32 v70, v70, v33
	v_fmac_f32_e32 v66, 0x3eaf1d44, v33
	v_add_f32_e32 v32, v40, v32
	v_add_f32_e32 v33, v41, v36
	v_fmac_f32_e32 v40, 0x3f441b7d, v34
	v_fmac_f32_e32 v41, 0x3f441b7d, v35
	;; [unrolled: 1-line block ×8, first 2 shown]
	v_add_f32_e32 v69, v37, v0
	v_fmac_f32_e32 v61, -0.5, v47
	v_fmac_f32_e32 v63, -0.5, v48
	;; [unrolled: 1-line block ×6, first 2 shown]
	v_sub_f32_e32 v69, v69, v1
	v_fmac_f32_e32 v38, -0.5, v75
	v_fmac_f32_e32 v39, -0.5, v76
	v_fmac_f32_e32 v59, 0x3eaf1d44, v37
	v_fmac_f32_e32 v60, 0x3eaf1d44, v49
	v_fmac_f32_e32 v61, 0xbf708fb2, v53
	v_fmac_f32_e32 v63, 0xbf708fb2, v54
	v_fmac_f32_e32 v65, 0x3eaf1d44, v1
	v_fmac_f32_e32 v67, 0xbf708fb2, v34
	v_fmac_f32_e32 v68, 0xbf708fb2, v35
	v_fmac_f32_e32 v73, 0x3eaf1d44, v0
	v_fmac_f32_e32 v74, 0x3eaf1d44, v42
	v_fmac_f32_e32 v40, 0xbf708fb2, v45
	v_fmac_f32_e32 v41, 0xbf708fb2, v46
	v_mul_f32_e32 v77, 0x3f5db3d7, v69
	v_mul_f32_e32 v78, 0x3f5db3d7, v70
	v_fmac_f32_e32 v38, 0x3f5db3d7, v70
	v_fmac_f32_e32 v39, 0xbf5db3d7, v69
	v_add_f32_e32 v34, v60, v61
	v_sub_f32_e32 v35, v63, v59
	v_add_f32_e32 v36, v66, v67
	v_sub_f32_e32 v37, v68, v65
	;; [unrolled: 2-line block ×3, first 2 shown]
	v_fma_f32 v42, -2.0, v78, v38
	v_fma_f32 v43, 2.0, v77, v39
	v_fma_f32 v0, -2.0, v60, v34
	v_fma_f32 v1, 2.0, v59, v35
	;; [unrolled: 2-line block ×4, first 2 shown]
	s_and_saveexec_b32 s1, s0
	s_cbranch_execz .LBB0_11
; %bb.10:
	v_add_nc_u32_e32 v40, 0x800, v55
	v_add_nc_u32_e32 v41, 0xc00, v55
	ds_write2_b64 v55, v[32:33], v[34:35] offset1:77
	ds_write2_b64 v55, v[36:37], v[38:39] offset0:154 offset1:231
	ds_write2_b64 v40, v[46:47], v[48:49] offset0:52 offset1:129
	;; [unrolled: 1-line block ×3, first 2 shown]
	ds_write_b64 v55, v[0:1] offset:4928
.LBB0_11:
	s_or_b32 exec_lo, exec_lo, s1
	s_waitcnt lgkmcnt(0)
	s_barrier
	buffer_gl0_inv
	s_and_saveexec_b32 s2, vcc_lo
	s_cbranch_execz .LBB0_13
; %bb.12:
	v_add_co_u32 v63, s1, s14, v55
	v_add_co_ci_u32_e64 v64, null, s15, 0, s1
	v_add_nc_u32_e32 v97, 0x800, v55
	v_add_co_u32 v40, s1, 0x1000, v63
	v_add_co_ci_u32_e64 v41, s1, 0, v64, s1
	v_add_co_u32 v53, s1, 0x15a8, v63
	v_add_co_ci_u32_e64 v54, s1, 0, v64, s1
	global_load_dwordx2 v[40:41], v[40:41], off offset:1448
	v_add_co_u32 v59, s1, 0x1800, v63
	v_add_co_ci_u32_e64 v60, s1, 0, v64, s1
	v_add_co_u32 v61, s1, 0x2000, v63
	v_add_co_ci_u32_e64 v62, s1, 0, v64, s1
	s_clause 0x6
	global_load_dwordx2 v[79:80], v[53:54], off offset:504
	global_load_dwordx2 v[81:82], v[53:54], off offset:1008
	;; [unrolled: 1-line block ×7, first 2 shown]
	v_add_co_u32 v59, s1, 0x2800, v63
	v_add_co_ci_u32_e64 v60, s1, 0, v64, s1
	s_clause 0x2
	global_load_dwordx2 v[91:92], v[61:62], off offset:1384
	global_load_dwordx2 v[93:94], v[61:62], off offset:1888
	;; [unrolled: 1-line block ×3, first 2 shown]
	ds_read_b64 v[59:60], v55
	v_add_nc_u32_e32 v98, 0x1000, v55
	s_waitcnt vmcnt(10) lgkmcnt(0)
	v_mul_f32_e32 v61, v60, v41
	v_mul_f32_e32 v62, v59, v41
	v_fma_f32 v61, v59, v40, -v61
	v_fmac_f32_e32 v62, v60, v40
	ds_write_b64 v55, v[61:62]
	ds_read2_b64 v[59:62], v55 offset0:63 offset1:126
	ds_read2_b64 v[63:66], v55 offset0:189 offset1:252
	;; [unrolled: 1-line block ×5, first 2 shown]
	s_waitcnt vmcnt(7) lgkmcnt(3)
	v_mul_f32_e32 v100, v64, v84
	v_mul_f32_e32 v40, v60, v80
	v_mul_f32_e32 v41, v59, v80
	v_mul_f32_e32 v99, v62, v82
	v_mul_f32_e32 v80, v61, v82
	v_mul_f32_e32 v82, v63, v84
	s_waitcnt vmcnt(6)
	v_mul_f32_e32 v101, v66, v54
	v_mul_f32_e32 v84, v65, v54
	s_waitcnt vmcnt(5) lgkmcnt(2)
	v_mul_f32_e32 v102, v68, v86
	v_mul_f32_e32 v54, v67, v86
	s_waitcnt vmcnt(4)
	v_mul_f32_e32 v103, v70, v88
	v_mul_f32_e32 v86, v69, v88
	s_waitcnt vmcnt(3) lgkmcnt(1)
	v_mul_f32_e32 v104, v72, v90
	v_mul_f32_e32 v88, v71, v90
	;; [unrolled: 6-line block ×3, first 2 shown]
	s_waitcnt vmcnt(0)
	v_mul_f32_e32 v107, v78, v96
	v_mul_f32_e32 v94, v77, v96
	v_fma_f32 v40, v59, v79, -v40
	v_fmac_f32_e32 v41, v60, v79
	v_fma_f32 v79, v61, v81, -v99
	v_fmac_f32_e32 v80, v62, v81
	;; [unrolled: 2-line block ×10, first 2 shown]
	ds_write2_b64 v55, v[40:41], v[79:80] offset0:63 offset1:126
	ds_write2_b64 v55, v[81:82], v[83:84] offset0:189 offset1:252
	;; [unrolled: 1-line block ×5, first 2 shown]
.LBB0_13:
	s_or_b32 exec_lo, exec_lo, s2
	s_waitcnt lgkmcnt(0)
	s_barrier
	buffer_gl0_inv
	s_and_saveexec_b32 s1, vcc_lo
	s_cbranch_execz .LBB0_15
; %bb.14:
	v_add_nc_u32_e32 v0, 0x400, v55
	v_add_nc_u32_e32 v1, 0x800, v55
	;; [unrolled: 1-line block ×3, first 2 shown]
	ds_read2_b64 v[32:35], v55 offset1:63
	ds_read2_b64 v[36:39], v55 offset0:126 offset1:189
	ds_read2_b64 v[46:49], v0 offset0:124 offset1:187
	;; [unrolled: 1-line block ×4, first 2 shown]
	ds_read_b64 v[51:52], v55 offset:5040
.LBB0_15:
	s_or_b32 exec_lo, exec_lo, s1
	s_waitcnt lgkmcnt(0)
	v_sub_f32_e32 v69, v35, v52
	v_add_f32_e32 v73, v52, v35
	v_add_f32_e32 v59, v51, v34
	v_sub_f32_e32 v61, v34, v51
	v_add_f32_e32 v74, v3, v37
	v_mul_f32_e32 v80, 0xbf7d64f0, v69
	v_sub_f32_e32 v70, v37, v3
	v_mul_f32_e32 v82, 0xbe11bafb, v73
	v_add_f32_e32 v60, v2, v36
	v_mul_f32_e32 v85, 0xbf4178ce, v69
	v_fma_f32 v40, 0xbe11bafb, v59, -v80
	v_mul_f32_e32 v88, 0xbf27a4f4, v73
	v_mul_f32_e32 v79, 0x3e903f40, v70
	v_fmamk_f32 v41, v61, 0xbf7d64f0, v82
	v_sub_f32_e32 v62, v36, v2
	v_mul_f32_e32 v83, 0xbf75a155, v74
	v_add_f32_e32 v77, v1, v39
	v_fma_f32 v53, 0xbf27a4f4, v59, -v85
	v_add_f32_e32 v40, v32, v40
	v_fmamk_f32 v54, v61, 0xbf4178ce, v88
	v_fma_f32 v63, 0xbf75a155, v60, -v79
	v_add_f32_e32 v41, v33, v41
	v_fmamk_f32 v65, v62, 0x3e903f40, v83
	v_sub_f32_e32 v71, v39, v1
	v_mul_f32_e32 v89, 0x3f7d64f0, v70
	v_mul_f32_e32 v93, 0xbe11bafb, v74
	v_sub_f32_e32 v64, v38, v0
	v_mul_f32_e32 v86, 0x3ed4b147, v77
	v_add_f32_e32 v53, v32, v53
	v_add_f32_e32 v54, v33, v54
	;; [unrolled: 1-line block ×4, first 2 shown]
	v_mul_f32_e32 v81, 0x3f68dda4, v71
	v_fma_f32 v66, 0xbe11bafb, v60, -v89
	v_fmamk_f32 v67, v62, 0x3f7d64f0, v93
	v_add_f32_e32 v41, v65, v41
	v_fmamk_f32 v65, v64, 0x3f68dda4, v86
	v_mul_f32_e32 v91, 0xbf0a6770, v71
	v_sub_f32_e32 v72, v47, v45
	v_fma_f32 v68, 0x3ed4b147, v63, -v81
	v_add_f32_e32 v53, v66, v53
	v_add_f32_e32 v54, v67, v54
	;; [unrolled: 1-line block ×4, first 2 shown]
	v_fma_f32 v67, 0x3f575c64, v63, -v91
	v_add_f32_e32 v65, v44, v46
	v_mul_f32_e32 v84, 0xbf0a6770, v72
	v_mul_f32_e32 v94, 0xbe903f40, v72
	v_add_f32_e32 v40, v68, v40
	v_mul_f32_e32 v95, 0x3f575c64, v77
	v_sub_f32_e32 v66, v46, v44
	v_mul_f32_e32 v90, 0x3f575c64, v76
	v_fma_f32 v75, 0x3f575c64, v65, -v84
	v_add_f32_e32 v53, v67, v53
	v_fma_f32 v78, 0xbf75a155, v65, -v94
	v_fmamk_f32 v68, v64, 0xbf0a6770, v95
	v_fmamk_f32 v67, v66, 0xbf0a6770, v90
	v_add_f32_e32 v40, v75, v40
	v_mul_f32_e32 v97, 0xbf75a155, v76
	v_add_f32_e32 v99, v78, v53
	v_sub_f32_e32 v75, v49, v43
	v_add_f32_e32 v78, v43, v49
	v_add_f32_e32 v54, v68, v54
	;; [unrolled: 1-line block ×3, first 2 shown]
	v_fmamk_f32 v53, v66, 0xbe903f40, v97
	v_add_f32_e32 v67, v42, v48
	v_sub_f32_e32 v68, v48, v42
	v_mul_f32_e32 v87, 0xbf4178ce, v75
	v_mul_f32_e32 v92, 0xbf27a4f4, v78
	;; [unrolled: 1-line block ×4, first 2 shown]
	v_add_f32_e32 v100, v53, v54
	v_fma_f32 v53, 0xbf27a4f4, v67, -v87
	v_fmamk_f32 v54, v68, 0xbf4178ce, v92
	v_fma_f32 v101, 0x3ed4b147, v67, -v96
	v_fmamk_f32 v102, v68, 0x3f68dda4, v98
	v_add_f32_e32 v53, v53, v40
	v_add_f32_e32 v54, v54, v41
	;; [unrolled: 1-line block ×4, first 2 shown]
	s_barrier
	buffer_gl0_inv
	s_and_saveexec_b32 s1, vcc_lo
	s_cbranch_execz .LBB0_17
; %bb.16:
	v_mul_f32_e32 v99, 0xbf4178ce, v61
	v_mul_f32_e32 v102, 0xbf27a4f4, v59
	;; [unrolled: 1-line block ×5, first 2 shown]
	v_sub_f32_e32 v88, v88, v99
	v_mul_f32_e32 v111, 0xbf0a6770, v64
	v_sub_f32_e32 v93, v93, v106
	v_add_f32_e32 v85, v102, v85
	v_mul_f32_e32 v104, 0x3e903f40, v62
	v_add_f32_e32 v88, v33, v88
	v_mul_f32_e32 v110, 0x3f575c64, v63
	v_mul_f32_e32 v117, 0xbe903f40, v66
	v_add_f32_e32 v85, v32, v85
	v_add_f32_e32 v89, v105, v89
	;; [unrolled: 1-line block ×3, first 2 shown]
	v_sub_f32_e32 v93, v95, v111
	v_sub_f32_e32 v82, v82, v101
	v_mul_f32_e32 v109, 0x3f68dda4, v64
	v_mul_f32_e32 v116, 0xbf75a155, v65
	;; [unrolled: 1-line block ×3, first 2 shown]
	v_add_f32_e32 v88, v93, v88
	v_sub_f32_e32 v93, v97, v117
	v_add_f32_e32 v85, v89, v85
	v_add_f32_e32 v89, v110, v91
	;; [unrolled: 1-line block ×3, first 2 shown]
	v_sub_f32_e32 v83, v83, v104
	v_mul_f32_e32 v100, 0xbe11bafb, v59
	v_mul_f32_e32 v115, 0xbf0a6770, v66
	;; [unrolled: 1-line block ×3, first 2 shown]
	v_add_f32_e32 v88, v93, v88
	v_sub_f32_e32 v91, v98, v127
	v_add_f32_e32 v85, v89, v85
	v_add_f32_e32 v89, v116, v94
	;; [unrolled: 1-line block ×3, first 2 shown]
	v_sub_f32_e32 v86, v86, v109
	v_mul_f32_e32 v103, 0xbf75a155, v60
	v_add_f32_e32 v83, v91, v88
	v_add_f32_e32 v85, v89, v85
	;; [unrolled: 1-line block ×5, first 2 shown]
	v_sub_f32_e32 v89, v90, v115
	v_mul_f32_e32 v90, 0x3ed4b147, v73
	v_mul_f32_e32 v107, 0x3ed4b147, v63
	;; [unrolled: 1-line block ×3, first 2 shown]
	v_add_f32_e32 v80, v32, v80
	v_add_f32_e32 v79, v103, v79
	;; [unrolled: 1-line block ×4, first 2 shown]
	v_fmamk_f32 v86, v61, 0x3f68dda4, v90
	v_mul_f32_e32 v88, 0xbf27a4f4, v74
	v_add_f32_e32 v79, v79, v80
	v_add_f32_e32 v80, v107, v81
	v_sub_f32_e32 v81, v92, v121
	v_add_f32_e32 v86, v33, v86
	v_fmamk_f32 v89, v62, 0x3f4178ce, v88
	v_mul_f32_e32 v91, 0xbf75a155, v77
	v_add_f32_e32 v79, v80, v79
	v_add_f32_e32 v80, v81, v85
	v_mul_f32_e32 v108, 0xbf75a155, v73
	v_add_f32_e32 v81, v89, v86
	v_fmamk_f32 v85, v64, 0xbe903f40, v91
	v_mul_f32_e32 v86, 0xbe11bafb, v76
	v_mul_f32_e32 v89, 0x3f575c64, v78
	;; [unrolled: 1-line block ×4, first 2 shown]
	v_add_f32_e32 v81, v85, v81
	v_fmamk_f32 v85, v66, 0xbf7d64f0, v86
	v_mul_f32_e32 v74, 0x3ed4b147, v74
	v_mul_f32_e32 v112, 0x3f575c64, v65
	;; [unrolled: 1-line block ×4, first 2 shown]
	v_add_f32_e32 v81, v85, v81
	v_fmamk_f32 v85, v68, 0xbf0a6770, v89
	v_fmamk_f32 v96, v62, 0x3f68dda4, v74
	v_add_f32_e32 v35, v35, v33
	v_mul_f32_e32 v120, 0xbf27a4f4, v67
	v_mul_f32_e32 v123, 0x3ed4b147, v76
	v_add_f32_e32 v85, v85, v81
	v_fmamk_f32 v81, v61, 0x3f0a6770, v73
	v_add_f32_e32 v84, v112, v84
	v_mul_f32_e32 v76, 0xbf27a4f4, v76
	v_add_f32_e32 v35, v37, v35
	v_add_f32_e32 v34, v34, v32
	;; [unrolled: 1-line block ×3, first 2 shown]
	v_mul_f32_e32 v122, 0xbe903f40, v69
	v_add_f32_e32 v79, v84, v79
	v_add_f32_e32 v84, v120, v87
	v_mul_f32_e32 v87, 0xbf68dda4, v69
	v_add_f32_e32 v81, v96, v81
	v_fmamk_f32 v96, v64, 0x3f7d64f0, v77
	v_fmamk_f32 v37, v66, 0x3f4178ce, v76
	v_mul_f32_e32 v69, 0xbf0a6770, v69
	v_add_f32_e32 v35, v39, v35
	v_add_f32_e32 v34, v36, v34
	;; [unrolled: 1-line block ×3, first 2 shown]
	v_mul_f32_e32 v39, 0xbf68dda4, v70
	v_fmamk_f32 v113, v61, 0x3e903f40, v108
	v_add_f32_e32 v35, v47, v35
	v_add_f32_e32 v34, v38, v34
	;; [unrolled: 1-line block ×3, first 2 shown]
	v_fmamk_f32 v37, v59, 0x3f575c64, v69
	v_mul_f32_e32 v38, 0xbf75a155, v78
	v_fmamk_f32 v47, v60, 0x3ed4b147, v39
	v_add_f32_e32 v35, v49, v35
	v_add_f32_e32 v34, v46, v34
	;; [unrolled: 1-line block ×3, first 2 shown]
	v_mul_f32_e32 v46, 0xbf7d64f0, v71
	v_fmamk_f32 v49, v68, 0x3e903f40, v38
	v_add_f32_e32 v43, v43, v35
	v_add_f32_e32 v34, v48, v34
	;; [unrolled: 1-line block ×3, first 2 shown]
	v_fmamk_f32 v47, v63, 0xbe11bafb, v46
	v_mul_f32_e32 v48, 0xbf4178ce, v72
	v_add_f32_e32 v35, v49, v36
	v_add_f32_e32 v36, v45, v43
	;; [unrolled: 1-line block ×4, first 2 shown]
	v_fmamk_f32 v42, v65, 0xbf27a4f4, v48
	v_mul_f32_e32 v43, 0xbe903f40, v75
	v_add_f32_e32 v113, v33, v113
	v_fmamk_f32 v118, v62, 0xbf0a6770, v114
	v_add_f32_e32 v1, v1, v36
	v_add_f32_e32 v34, v44, v34
	v_fmac_f32_e32 v108, 0xbe903f40, v61
	v_add_f32_e32 v36, v42, v37
	v_fmamk_f32 v37, v67, 0xbf75a155, v43
	v_add_f32_e32 v113, v118, v113
	v_fmamk_f32 v118, v64, 0x3f4178ce, v119
	v_fmamk_f32 v125, v59, 0xbf75a155, v122
	v_mul_f32_e32 v126, 0x3f0a6770, v70
	v_add_f32_e32 v1, v3, v1
	v_add_f32_e32 v0, v0, v34
	;; [unrolled: 1-line block ×3, first 2 shown]
	v_fmac_f32_e32 v114, 0x3f0a6770, v62
	v_add_f32_e32 v34, v37, v36
	v_fma_f32 v36, 0xbf75a155, v59, -v122
	v_add_f32_e32 v113, v118, v113
	v_fmamk_f32 v118, v66, 0xbf68dda4, v123
	v_add_f32_e32 v125, v32, v125
	v_fmamk_f32 v128, v60, 0x3f575c64, v126
	v_mul_f32_e32 v129, 0xbf4178ce, v71
	v_add_f32_e32 v0, v2, v0
	v_add_f32_e32 v2, v114, v3
	v_fmac_f32_e32 v119, 0xbf4178ce, v64
	v_add_f32_e32 v3, v32, v36
	v_fma_f32 v36, 0x3f575c64, v60, -v126
	v_fmac_f32_e32 v90, 0xbf68dda4, v61
	v_add_f32_e32 v113, v118, v113
	v_mul_f32_e32 v118, 0xbe11bafb, v78
	v_add_f32_e32 v99, v128, v125
	v_mul_f32_e32 v128, 0x3f68dda4, v72
	v_add_f32_e32 v2, v119, v2
	v_fmac_f32_e32 v123, 0x3f68dda4, v66
	v_add_f32_e32 v3, v36, v3
	v_fma_f32 v36, 0xbf27a4f4, v63, -v129
	v_add_f32_e32 v37, v33, v90
	v_fmac_f32_e32 v88, 0xbf4178ce, v62
	v_fmamk_f32 v130, v68, 0x3f7d64f0, v118
	v_mul_f32_e32 v102, 0xbf7d64f0, v75
	v_add_f32_e32 v2, v123, v2
	v_fmac_f32_e32 v118, 0xbf7d64f0, v68
	v_add_f32_e32 v36, v36, v3
	v_fma_f32 v42, 0x3ed4b147, v65, -v128
	v_add_f32_e32 v37, v88, v37
	v_fmac_f32_e32 v91, 0x3e903f40, v64
	v_fmamk_f32 v125, v63, 0xbf27a4f4, v129
	v_add_f32_e32 v3, v118, v2
	v_fma_f32 v2, 0x3ed4b147, v59, -v87
	v_add_f32_e32 v36, v42, v36
	v_fma_f32 v42, 0xbe11bafb, v67, -v102
	v_add_f32_e32 v37, v91, v37
	v_fmac_f32_e32 v86, 0x3f7d64f0, v66
	v_add_f32_e32 v106, v125, v99
	v_fmamk_f32 v125, v65, 0x3ed4b147, v128
	v_add_f32_e32 v79, v84, v79
	v_fmamk_f32 v84, v59, 0x3ed4b147, v87
	v_mul_f32_e32 v92, 0xbf4178ce, v70
	v_add_f32_e32 v44, v32, v2
	v_add_f32_e32 v2, v42, v36
	v_fmac_f32_e32 v73, 0xbf0a6770, v61
	v_add_f32_e32 v36, v86, v37
	v_fma_f32 v37, 0x3f575c64, v59, -v69
	v_add_f32_e32 v95, v125, v106
	v_fmamk_f32 v97, v67, 0xbe11bafb, v102
	v_add_f32_e32 v84, v32, v84
	v_fmamk_f32 v93, v60, 0xbf27a4f4, v92
	v_mul_f32_e32 v94, 0x3e903f40, v71
	v_fma_f32 v45, 0xbf27a4f4, v60, -v92
	v_add_f32_e32 v33, v33, v73
	v_fmac_f32_e32 v74, 0xbf68dda4, v62
	v_add_f32_e32 v32, v32, v37
	v_fma_f32 v37, 0x3ed4b147, v60, -v39
	v_add_f32_e32 v98, v97, v95
	v_add_f32_e32 v84, v93, v84
	v_fmamk_f32 v93, v63, 0xbf75a155, v94
	v_mul_f32_e32 v95, 0x3f7d64f0, v72
	v_add_f32_e32 v42, v45, v44
	v_fma_f32 v44, 0xbf75a155, v63, -v94
	v_add_f32_e32 v33, v74, v33
	v_fmac_f32_e32 v77, 0xbf7d64f0, v64
	v_add_f32_e32 v32, v37, v32
	v_fma_f32 v37, 0xbe11bafb, v63, -v46
	v_add_f32_e32 v84, v93, v84
	v_fmamk_f32 v93, v65, 0xbe11bafb, v95
	v_mul_f32_e32 v97, 0x3f0a6770, v75
	v_add_f32_e32 v39, v44, v42
	v_fma_f32 v42, 0xbe11bafb, v65, -v95
	v_add_f32_e32 v33, v77, v33
	v_fmac_f32_e32 v76, 0xbf4178ce, v66
	v_add_f32_e32 v32, v37, v32
	v_fma_f32 v37, 0xbf27a4f4, v65, -v48
	v_mov_b32_e32 v44, 3
	v_add_f32_e32 v84, v93, v84
	v_fmamk_f32 v93, v67, 0x3f575c64, v97
	v_fmac_f32_e32 v89, 0x3f0a6770, v68
	v_add_f32_e32 v39, v42, v39
	v_fma_f32 v42, 0x3f575c64, v67, -v97
	v_add_f32_e32 v1, v52, v1
	v_add_f32_e32 v0, v51, v0
	;; [unrolled: 1-line block ×3, first 2 shown]
	v_fmac_f32_e32 v38, 0xbe903f40, v68
	v_add_f32_e32 v46, v37, v32
	v_fma_f32 v43, 0xbf75a155, v67, -v43
	v_lshlrev_b32_sdwa v44, v44, v57 dst_sel:DWORD dst_unused:UNUSED_PAD src0_sel:DWORD src1_sel:WORD_0
	v_add_f32_e32 v84, v93, v84
	v_add_f32_e32 v99, v130, v113
	;; [unrolled: 1-line block ×6, first 2 shown]
	ds_write2_b64 v44, v[0:1], v[34:35] offset1:1
	ds_write2_b64 v44, v[84:85], v[79:80] offset0:2 offset1:3
	ds_write2_b64 v44, v[82:83], v[98:99] offset0:4 offset1:5
	;; [unrolled: 1-line block ×4, first 2 shown]
	ds_write_b64 v44, v[36:37] offset:80
.LBB0_17:
	s_or_b32 exec_lo, exec_lo, s1
	s_waitcnt lgkmcnt(0)
	s_barrier
	buffer_gl0_inv
	ds_read2_b64 v[0:3], v55 offset1:99
	v_add_nc_u32_e32 v33, 0x400, v55
	v_add_nc_u32_e32 v32, 0x800, v55
	ds_read_b64 v[37:38], v55 offset:4752
	ds_read2_b64 v[33:36], v33 offset0:70 offset1:169
	ds_read2_b64 v[42:45], v32 offset0:140 offset1:239
	s_waitcnt lgkmcnt(0)
	s_barrier
	buffer_gl0_inv
	v_mul_f32_e32 v39, v13, v3
	v_mul_f32_e32 v13, v13, v2
	;; [unrolled: 1-line block ×4, first 2 shown]
	v_fmac_f32_e32 v39, v12, v2
	v_fma_f32 v2, v12, v3, -v13
	v_mul_f32_e32 v3, v15, v34
	v_mul_f32_e32 v12, v15, v33
	;; [unrolled: 1-line block ×8, first 2 shown]
	v_fmac_f32_e32 v46, v6, v37
	v_fma_f32 v6, v6, v38, -v7
	v_fmac_f32_e32 v3, v14, v33
	v_fma_f32 v7, v14, v34, -v12
	;; [unrolled: 2-line block ×5, first 2 shown]
	v_add_f32_e32 v5, v39, v46
	v_add_f32_e32 v10, v2, v6
	v_sub_f32_e32 v2, v2, v6
	v_add_f32_e32 v6, v3, v47
	v_add_f32_e32 v12, v7, v4
	v_sub_f32_e32 v11, v39, v46
	v_sub_f32_e32 v3, v3, v47
	;; [unrolled: 1-line block ×3, first 2 shown]
	v_add_f32_e32 v7, v13, v15
	v_add_f32_e32 v14, v8, v9
	v_sub_f32_e32 v13, v15, v13
	v_sub_f32_e32 v8, v9, v8
	v_add_f32_e32 v9, v6, v5
	v_add_f32_e32 v15, v12, v10
	v_sub_f32_e32 v33, v6, v5
	v_sub_f32_e32 v34, v12, v10
	;; [unrolled: 1-line block ×6, first 2 shown]
	v_add_f32_e32 v35, v13, v3
	v_add_f32_e32 v36, v8, v4
	v_sub_f32_e32 v37, v13, v3
	v_sub_f32_e32 v38, v8, v4
	v_sub_f32_e32 v3, v3, v11
	v_add_f32_e32 v7, v7, v9
	v_add_f32_e32 v9, v14, v15
	v_sub_f32_e32 v4, v4, v2
	v_sub_f32_e32 v13, v11, v13
	v_sub_f32_e32 v8, v2, v8
	v_add_f32_e32 v11, v35, v11
	v_add_f32_e32 v2, v36, v2
	;; [unrolled: 1-line block ×4, first 2 shown]
	v_mul_f32_e32 v5, 0x3f4a47b2, v5
	v_mul_f32_e32 v10, 0x3f4a47b2, v10
	;; [unrolled: 1-line block ×8, first 2 shown]
	v_fmamk_f32 v7, v7, 0xbf955555, v0
	v_fmamk_f32 v9, v9, 0xbf955555, v1
	v_fmamk_f32 v6, v6, 0x3d64c772, v5
	v_fmamk_f32 v12, v12, 0x3d64c772, v10
	v_fma_f32 v14, 0x3f3bfb3b, v33, -v14
	v_fma_f32 v15, 0x3f3bfb3b, v34, -v15
	;; [unrolled: 1-line block ×4, first 2 shown]
	v_fmamk_f32 v33, v13, 0xbeae86e6, v35
	v_fmamk_f32 v34, v8, 0xbeae86e6, v36
	v_fma_f32 v35, 0xbf5ff5aa, v3, -v35
	v_fma_f32 v36, 0xbf5ff5aa, v4, -v36
	v_fma_f32 v13, 0x3eae86e6, v13, -v37
	v_fma_f32 v37, 0x3eae86e6, v8, -v38
	v_add_f32_e32 v38, v6, v7
	v_add_f32_e32 v12, v12, v9
	v_add_f32_e32 v8, v14, v7
	v_add_f32_e32 v14, v15, v9
	v_add_f32_e32 v15, v5, v7
	v_add_f32_e32 v39, v10, v9
	v_fmac_f32_e32 v33, 0xbee1c552, v11
	v_fmac_f32_e32 v34, 0xbee1c552, v2
	;; [unrolled: 1-line block ×6, first 2 shown]
	v_add_f32_e32 v2, v34, v38
	v_sub_f32_e32 v3, v12, v33
	v_add_f32_e32 v4, v37, v15
	v_sub_f32_e32 v5, v39, v13
	v_sub_f32_e32 v6, v8, v36
	v_add_f32_e32 v7, v35, v14
	v_add_f32_e32 v8, v36, v8
	v_sub_f32_e32 v9, v14, v35
	v_sub_f32_e32 v10, v15, v37
	v_add_f32_e32 v11, v13, v39
	v_sub_f32_e32 v38, v38, v34
	v_add_f32_e32 v39, v33, v12
	ds_write2_b64 v58, v[0:1], v[2:3] offset1:11
	ds_write2_b64 v58, v[4:5], v[6:7] offset0:22 offset1:33
	ds_write2_b64 v58, v[8:9], v[10:11] offset0:44 offset1:55
	ds_write_b64 v58, v[38:39] offset:528
	s_waitcnt lgkmcnt(0)
	s_barrier
	buffer_gl0_inv
	s_and_saveexec_b32 s1, s0
	s_cbranch_execz .LBB0_19
; %bb.18:
	v_add_nc_u32_e32 v12, 0xc00, v55
	ds_read2_b64 v[0:3], v55 offset1:77
	ds_read2_b64 v[4:7], v55 offset0:154 offset1:231
	ds_read2_b64 v[8:11], v32 offset0:52 offset1:129
	;; [unrolled: 1-line block ×3, first 2 shown]
	ds_read_b64 v[53:54], v55 offset:4928
.LBB0_19:
	s_or_b32 exec_lo, exec_lo, s1
	s_and_saveexec_b32 s1, s0
	s_cbranch_execz .LBB0_21
; %bb.20:
	s_waitcnt lgkmcnt(3)
	v_mul_f32_e32 v15, v19, v5
	s_waitcnt lgkmcnt(2)
	v_mul_f32_e32 v13, v27, v9
	v_mul_f32_e32 v14, v29, v11
	s_waitcnt lgkmcnt(1)
	v_mul_f32_e32 v32, v21, v41
	v_mul_f32_e32 v21, v21, v40
	v_fmac_f32_e32 v15, v18, v4
	v_mul_f32_e32 v4, v19, v4
	v_fmac_f32_e32 v13, v26, v8
	v_fmac_f32_e32 v14, v28, v10
	v_mul_f32_e32 v33, v25, v7
	v_fmac_f32_e32 v32, v20, v40
	v_fma_f32 v20, v20, v41, -v21
	v_fma_f32 v4, v18, v5, -v4
	v_mul_f32_e32 v5, v29, v10
	v_mul_f32_e32 v8, v27, v8
	;; [unrolled: 1-line block ×4, first 2 shown]
	v_sub_f32_e32 v35, v13, v14
	v_fmac_f32_e32 v33, v24, v6
	v_add_f32_e32 v18, v20, v4
	v_fma_f32 v11, v28, v11, -v5
	v_fma_f32 v8, v26, v9, -v8
	v_mul_f32_e32 v5, v31, v38
	v_mul_f32_e32 v6, v25, v6
	v_fmac_f32_e32 v12, v16, v2
	s_waitcnt lgkmcnt(0)
	v_mul_f32_e32 v36, v23, v54
	v_fmac_f32_e32 v34, v30, v38
	v_sub_f32_e32 v37, v15, v32
	v_mul_f32_e32 v42, 0x3f7c1c5c, v35
	v_fmamk_f32 v9, v18, 0x3f441b7d, v1
	v_add_f32_e32 v21, v11, v8
	v_fma_f32 v5, v30, v39, -v5
	v_fma_f32 v6, v24, v7, -v6
	v_mul_f32_e32 v7, v23, v53
	v_mul_f32_e32 v2, v17, v2
	v_fmac_f32_e32 v36, v22, v53
	v_sub_f32_e32 v19, v33, v34
	v_fma_f32 v40, 0xbf248dbb, v37, -v42
	v_fmac_f32_e32 v9, 0x3e31d0d4, v21
	v_sub_f32_e32 v17, v8, v11
	v_add_f32_e32 v23, v5, v6
	v_fma_f32 v7, v22, v54, -v7
	v_fma_f32 v2, v16, v3, -v2
	v_add_f32_e32 v15, v32, v15
	v_sub_f32_e32 v10, v12, v36
	v_fmac_f32_e32 v40, 0x3f5db3d7, v19
	v_sub_f32_e32 v16, v4, v20
	v_mul_f32_e32 v3, 0x3f7c1c5c, v17
	v_fmac_f32_e32 v9, -0.5, v23
	v_add_f32_e32 v20, v7, v2
	v_sub_f32_e32 v22, v6, v5
	v_fmamk_f32 v6, v15, 0x3f441b7d, v0
	v_add_f32_e32 v24, v14, v13
	v_add_f32_e32 v12, v36, v12
	v_fmac_f32_e32 v40, 0x3eaf1d44, v10
	v_fma_f32 v4, 0xbf248dbb, v16, -v3
	v_fmac_f32_e32 v9, 0xbf708fb2, v20
	v_sub_f32_e32 v25, v2, v7
	v_fmac_f32_e32 v6, 0x3e31d0d4, v24
	v_add_f32_e32 v26, v34, v33
	v_add_f32_e32 v2, v18, v20
	;; [unrolled: 1-line block ×3, first 2 shown]
	v_fmac_f32_e32 v4, 0x3f5db3d7, v22
	v_add_f32_e32 v3, v40, v9
	v_fmac_f32_e32 v6, -0.5, v26
	v_add_f32_e32 v7, v23, v2
	v_add_f32_e32 v9, v26, v27
	v_fmac_f32_e32 v4, 0x3eaf1d44, v25
	v_add_f32_e32 v28, v35, v10
	v_add_f32_e32 v5, v23, v1
	;; [unrolled: 1-line block ×3, first 2 shown]
	v_fmac_f32_e32 v6, 0xbf708fb2, v12
	v_add_f32_e32 v7, v8, v7
	v_add_f32_e32 v8, v13, v9
	v_sub_f32_e32 v9, v28, v37
	v_fmac_f32_e32 v5, -0.5, v2
	v_sub_f32_e32 v2, v6, v4
	v_add_f32_e32 v11, v11, v7
	v_add_f32_e32 v8, v14, v8
	v_fmamk_f32 v28, v21, 0x3f441b7d, v1
	v_mul_f32_e32 v14, 0xbf248dbb, v35
	v_mul_f32_e32 v29, 0xbf248dbb, v17
	v_fmamk_f32 v30, v24, 0x3f441b7d, v0
	v_mul_f32_e32 v13, 0x3f5db3d7, v9
	v_fmac_f32_e32 v5, 0x3f5db3d7, v9
	v_fma_f32 v6, 2.0, v4, v2
	v_add_f32_e32 v9, v1, v11
	v_add_f32_e32 v8, v0, v8
	;; [unrolled: 1-line block ×3, first 2 shown]
	v_fmac_f32_e32 v28, 0x3e31d0d4, v20
	v_mul_f32_e32 v31, 0x3f248dbb, v10
	v_fmac_f32_e32 v1, 0x3f441b7d, v20
	v_mul_f32_e32 v20, 0x3f248dbb, v25
	v_fmac_f32_e32 v0, 0x3f441b7d, v12
	v_fmac_f32_e32 v14, 0x3f7c1c5c, v10
	;; [unrolled: 1-line block ×8, first 2 shown]
	v_fma_f32 v11, -2.0, v13, v5
	v_add_f32_e32 v13, v17, v25
	v_add_f32_e32 v27, v24, v27
	v_fmac_f32_e32 v14, 0xbf5db3d7, v19
	v_fmac_f32_e32 v28, -0.5, v23
	v_fmac_f32_e32 v29, 0xbf5db3d7, v22
	v_fmac_f32_e32 v30, -0.5, v26
	v_fmac_f32_e32 v31, 0x3f5db3d7, v19
	v_fmac_f32_e32 v1, -0.5, v23
	v_fmac_f32_e32 v20, 0x3f5db3d7, v22
	v_fmac_f32_e32 v0, -0.5, v26
	v_sub_f32_e32 v13, v13, v16
	v_fmac_f32_e32 v4, -0.5, v27
	v_fmac_f32_e32 v14, 0x3eaf1d44, v37
	v_fmac_f32_e32 v28, 0xbf708fb2, v18
	;; [unrolled: 1-line block ×8, first 2 shown]
	v_mul_f32_e32 v27, 0x3f5db3d7, v13
	v_fmac_f32_e32 v4, 0xbf5db3d7, v13
	v_add_f32_e32 v13, v14, v28
	v_sub_f32_e32 v12, v30, v29
	v_add_f32_e32 v1, v31, v1
	v_sub_f32_e32 v0, v0, v20
	v_fma_f32 v7, -2.0, v40, v3
	v_add_nc_u32_e32 v18, 0x800, v55
	v_fma_f32 v10, 2.0, v27, v4
	v_fma_f32 v15, -2.0, v14, v13
	v_fma_f32 v14, 2.0, v29, v12
	v_add_nc_u32_e32 v19, 0xc00, v55
	v_fma_f32 v17, -2.0, v31, v1
	v_fma_f32 v16, 2.0, v20, v0
	ds_write2_b64 v55, v[8:9], v[0:1] offset1:77
	ds_write2_b64 v55, v[12:13], v[4:5] offset0:154 offset1:231
	ds_write2_b64 v18, v[2:3], v[6:7] offset0:52 offset1:129
	;; [unrolled: 1-line block ×3, first 2 shown]
	ds_write_b64 v55, v[16:17] offset:4928
.LBB0_21:
	s_or_b32 exec_lo, exec_lo, s1
	s_waitcnt lgkmcnt(0)
	s_barrier
	buffer_gl0_inv
	s_and_b32 exec_lo, exec_lo, vcc_lo
	s_cbranch_execz .LBB0_23
; %bb.22:
	v_add_co_u32 v2, s0, s14, v55
	v_add_co_ci_u32_e64 v3, null, s15, 0, s0
	s_clause 0x4
	global_load_dwordx2 v[20:21], v55, s[14:15]
	global_load_dwordx2 v[22:23], v55, s[14:15] offset:504
	global_load_dwordx2 v[24:25], v55, s[14:15] offset:1008
	;; [unrolled: 1-line block ×4, first 2 shown]
	v_add_co_u32 v0, vcc_lo, 0x800, v2
	v_add_co_ci_u32_e32 v1, vcc_lo, 0, v3, vcc_lo
	v_add_co_u32 v2, vcc_lo, 0x1000, v2
	v_add_co_ci_u32_e32 v3, vcc_lo, 0, v3, vcc_lo
	s_clause 0x5
	global_load_dwordx2 v[30:31], v[0:1], off offset:472
	global_load_dwordx2 v[32:33], v[0:1], off offset:976
	;; [unrolled: 1-line block ×6, first 2 shown]
	v_mad_u64_u32 v[4:5], null, s4, v56, 0
	v_mad_u64_u32 v[0:1], null, s6, v50, 0
	ds_read_b64 v[42:43], v55
	v_add_nc_u32_e32 v12, 0x800, v55
	v_add_nc_u32_e32 v16, 0x1000, v55
	s_mul_i32 s2, s5, 0x1f8
	v_mov_b32_e32 v2, v5
	s_mul_hi_u32 s3, s4, 0x1f8
	ds_read2_b64 v[8:11], v12 offset0:59 offset1:122
	ds_read2_b64 v[12:15], v12 offset0:185 offset1:248
	;; [unrolled: 1-line block ×3, first 2 shown]
	v_mad_u64_u32 v[5:6], null, s7, v50, v[1:2]
	v_mad_u64_u32 v[2:3], null, s5, v56, v[2:3]
	s_mulk_i32 s4, 0x1f8
	s_mov_b32 s0, 0x5e918c
	s_add_i32 s3, s3, s2
	s_mov_b32 s1, 0x3f57a463
	v_mov_b32_e32 v1, v5
	v_mov_b32_e32 v5, v2
	v_lshlrev_b64 v[6:7], 3, v[0:1]
	ds_read2_b64 v[0:3], v55 offset0:63 offset1:126
	v_lshlrev_b64 v[4:5], 3, v[4:5]
	v_add_co_u32 v6, vcc_lo, s12, v6
	v_add_co_ci_u32_e32 v7, vcc_lo, s13, v7, vcc_lo
	v_add_co_u32 v44, vcc_lo, v6, v4
	v_add_co_ci_u32_e32 v45, vcc_lo, v7, v5, vcc_lo
	ds_read2_b64 v[4:7], v55 offset0:189 offset1:252
	v_add_co_u32 v46, vcc_lo, v44, s4
	v_add_co_ci_u32_e32 v47, vcc_lo, s3, v45, vcc_lo
	v_add_co_u32 v48, vcc_lo, v46, s4
	v_add_co_ci_u32_e32 v49, vcc_lo, s3, v47, vcc_lo
	;; [unrolled: 2-line block ×7, first 2 shown]
	s_waitcnt vmcnt(10) lgkmcnt(5)
	v_mul_f32_e32 v60, v43, v21
	s_waitcnt vmcnt(9) lgkmcnt(1)
	v_mul_f32_e32 v61, v1, v23
	v_mul_f32_e32 v21, v42, v21
	;; [unrolled: 1-line block ×3, first 2 shown]
	s_waitcnt vmcnt(8)
	v_mul_f32_e32 v62, v3, v25
	s_waitcnt vmcnt(7) lgkmcnt(0)
	v_mul_f32_e32 v63, v5, v27
	s_waitcnt vmcnt(6)
	v_mul_f32_e32 v64, v7, v29
	v_fmac_f32_e32 v60, v42, v20
	v_mul_f32_e32 v27, v4, v27
	v_fmac_f32_e32 v61, v0, v22
	v_mul_f32_e32 v25, v2, v25
	v_mul_f32_e32 v29, v6, v29
	v_fma_f32 v20, v20, v43, -v21
	v_fma_f32 v21, v22, v1, -v23
	v_fmac_f32_e32 v62, v2, v24
	v_fmac_f32_e32 v63, v4, v26
	;; [unrolled: 1-line block ×3, first 2 shown]
	v_cvt_f64_f32_e32 v[0:1], v60
	s_waitcnt vmcnt(5)
	v_mul_f32_e32 v60, v9, v31
	v_mul_f32_e32 v31, v8, v31
	v_fma_f32 v26, v26, v5, -v27
	v_cvt_f64_f32_e32 v[4:5], v61
	s_waitcnt vmcnt(4)
	v_mul_f32_e32 v61, v11, v33
	v_mul_f32_e32 v33, v10, v33
	v_fma_f32 v22, v24, v3, -v25
	v_fma_f32 v42, v28, v7, -v29
	v_cvt_f64_f32_e32 v[2:3], v20
	v_cvt_f64_f32_e32 v[6:7], v21
	v_cvt_f64_f32_e32 v[20:21], v62
	s_waitcnt vmcnt(3)
	v_mul_f32_e32 v62, v13, v35
	v_mul_f32_e32 v35, v12, v35
	v_cvt_f64_f32_e32 v[24:25], v63
	s_waitcnt vmcnt(2)
	v_mul_f32_e32 v63, v15, v37
	v_mul_f32_e32 v37, v14, v37
	v_cvt_f64_f32_e32 v[28:29], v64
	s_waitcnt vmcnt(1)
	v_mul_f32_e32 v64, v17, v39
	v_mul_f32_e32 v39, v16, v39
	s_waitcnt vmcnt(0)
	v_mul_f32_e32 v65, v19, v41
	v_mul_f32_e32 v41, v18, v41
	v_fmac_f32_e32 v60, v8, v30
	v_fma_f32 v30, v30, v9, -v31
	v_fmac_f32_e32 v61, v10, v32
	v_fma_f32 v31, v32, v11, -v33
	v_cvt_f64_f32_e32 v[22:23], v22
	v_fmac_f32_e32 v62, v12, v34
	v_fma_f32 v32, v34, v13, -v35
	v_cvt_f64_f32_e32 v[26:27], v26
	;; [unrolled: 3-line block ×3, first 2 shown]
	v_fmac_f32_e32 v64, v16, v38
	v_fma_f32 v36, v38, v17, -v39
	v_fmac_f32_e32 v65, v18, v40
	v_fma_f32 v40, v40, v19, -v41
	v_cvt_f64_f32_e32 v[8:9], v60
	v_cvt_f64_f32_e32 v[10:11], v30
	;; [unrolled: 1-line block ×12, first 2 shown]
	v_mul_f64 v[0:1], v[0:1], s[0:1]
	v_mul_f64 v[2:3], v[2:3], s[0:1]
	;; [unrolled: 1-line block ×22, first 2 shown]
	v_cvt_f32_f64_e32 v0, v[0:1]
	v_cvt_f32_f64_e32 v1, v[2:3]
	;; [unrolled: 1-line block ×22, first 2 shown]
	v_add_co_u32 v22, vcc_lo, v58, s4
	v_add_co_ci_u32_e32 v23, vcc_lo, s3, v59, vcc_lo
	v_add_co_u32 v24, vcc_lo, v22, s4
	v_add_co_ci_u32_e32 v25, vcc_lo, s3, v23, vcc_lo
	;; [unrolled: 2-line block ×3, first 2 shown]
	global_store_dwordx2 v[44:45], v[0:1], off
	global_store_dwordx2 v[46:47], v[2:3], off
	;; [unrolled: 1-line block ×11, first 2 shown]
.LBB0_23:
	s_endpgm
	.section	.rodata,"a",@progbits
	.p2align	6, 0x0
	.amdhsa_kernel bluestein_single_back_len693_dim1_sp_op_CI_CI
		.amdhsa_group_segment_fixed_size 5544
		.amdhsa_private_segment_fixed_size 0
		.amdhsa_kernarg_size 104
		.amdhsa_user_sgpr_count 6
		.amdhsa_user_sgpr_private_segment_buffer 1
		.amdhsa_user_sgpr_dispatch_ptr 0
		.amdhsa_user_sgpr_queue_ptr 0
		.amdhsa_user_sgpr_kernarg_segment_ptr 1
		.amdhsa_user_sgpr_dispatch_id 0
		.amdhsa_user_sgpr_flat_scratch_init 0
		.amdhsa_user_sgpr_private_segment_size 0
		.amdhsa_wavefront_size32 1
		.amdhsa_uses_dynamic_stack 0
		.amdhsa_system_sgpr_private_segment_wavefront_offset 0
		.amdhsa_system_sgpr_workgroup_id_x 1
		.amdhsa_system_sgpr_workgroup_id_y 0
		.amdhsa_system_sgpr_workgroup_id_z 0
		.amdhsa_system_sgpr_workgroup_info 0
		.amdhsa_system_vgpr_workitem_id 0
		.amdhsa_next_free_vgpr 131
		.amdhsa_next_free_sgpr 16
		.amdhsa_reserve_vcc 1
		.amdhsa_reserve_flat_scratch 0
		.amdhsa_float_round_mode_32 0
		.amdhsa_float_round_mode_16_64 0
		.amdhsa_float_denorm_mode_32 3
		.amdhsa_float_denorm_mode_16_64 3
		.amdhsa_dx10_clamp 1
		.amdhsa_ieee_mode 1
		.amdhsa_fp16_overflow 0
		.amdhsa_workgroup_processor_mode 1
		.amdhsa_memory_ordered 1
		.amdhsa_forward_progress 0
		.amdhsa_shared_vgpr_count 0
		.amdhsa_exception_fp_ieee_invalid_op 0
		.amdhsa_exception_fp_denorm_src 0
		.amdhsa_exception_fp_ieee_div_zero 0
		.amdhsa_exception_fp_ieee_overflow 0
		.amdhsa_exception_fp_ieee_underflow 0
		.amdhsa_exception_fp_ieee_inexact 0
		.amdhsa_exception_int_div_zero 0
	.end_amdhsa_kernel
	.text
.Lfunc_end0:
	.size	bluestein_single_back_len693_dim1_sp_op_CI_CI, .Lfunc_end0-bluestein_single_back_len693_dim1_sp_op_CI_CI
                                        ; -- End function
	.section	.AMDGPU.csdata,"",@progbits
; Kernel info:
; codeLenInByte = 10764
; NumSgprs: 18
; NumVgprs: 131
; ScratchSize: 0
; MemoryBound: 0
; FloatMode: 240
; IeeeMode: 1
; LDSByteSize: 5544 bytes/workgroup (compile time only)
; SGPRBlocks: 2
; VGPRBlocks: 16
; NumSGPRsForWavesPerEU: 18
; NumVGPRsForWavesPerEU: 131
; Occupancy: 7
; WaveLimiterHint : 1
; COMPUTE_PGM_RSRC2:SCRATCH_EN: 0
; COMPUTE_PGM_RSRC2:USER_SGPR: 6
; COMPUTE_PGM_RSRC2:TRAP_HANDLER: 0
; COMPUTE_PGM_RSRC2:TGID_X_EN: 1
; COMPUTE_PGM_RSRC2:TGID_Y_EN: 0
; COMPUTE_PGM_RSRC2:TGID_Z_EN: 0
; COMPUTE_PGM_RSRC2:TIDIG_COMP_CNT: 0
	.text
	.p2alignl 6, 3214868480
	.fill 48, 4, 3214868480
	.type	__hip_cuid_a3d5b046dbac01fc,@object ; @__hip_cuid_a3d5b046dbac01fc
	.section	.bss,"aw",@nobits
	.globl	__hip_cuid_a3d5b046dbac01fc
__hip_cuid_a3d5b046dbac01fc:
	.byte	0                               ; 0x0
	.size	__hip_cuid_a3d5b046dbac01fc, 1

	.ident	"AMD clang version 19.0.0git (https://github.com/RadeonOpenCompute/llvm-project roc-6.4.0 25133 c7fe45cf4b819c5991fe208aaa96edf142730f1d)"
	.section	".note.GNU-stack","",@progbits
	.addrsig
	.addrsig_sym __hip_cuid_a3d5b046dbac01fc
	.amdgpu_metadata
---
amdhsa.kernels:
  - .args:
      - .actual_access:  read_only
        .address_space:  global
        .offset:         0
        .size:           8
        .value_kind:     global_buffer
      - .actual_access:  read_only
        .address_space:  global
        .offset:         8
        .size:           8
        .value_kind:     global_buffer
      - .actual_access:  read_only
        .address_space:  global
        .offset:         16
        .size:           8
        .value_kind:     global_buffer
      - .actual_access:  read_only
        .address_space:  global
        .offset:         24
        .size:           8
        .value_kind:     global_buffer
      - .actual_access:  read_only
        .address_space:  global
        .offset:         32
        .size:           8
        .value_kind:     global_buffer
      - .offset:         40
        .size:           8
        .value_kind:     by_value
      - .address_space:  global
        .offset:         48
        .size:           8
        .value_kind:     global_buffer
      - .address_space:  global
        .offset:         56
        .size:           8
        .value_kind:     global_buffer
      - .address_space:  global
        .offset:         64
        .size:           8
        .value_kind:     global_buffer
      - .address_space:  global
        .offset:         72
        .size:           8
        .value_kind:     global_buffer
      - .offset:         80
        .size:           4
        .value_kind:     by_value
      - .address_space:  global
        .offset:         88
        .size:           8
        .value_kind:     global_buffer
      - .address_space:  global
        .offset:         96
        .size:           8
        .value_kind:     global_buffer
    .group_segment_fixed_size: 5544
    .kernarg_segment_align: 8
    .kernarg_segment_size: 104
    .language:       OpenCL C
    .language_version:
      - 2
      - 0
    .max_flat_workgroup_size: 99
    .name:           bluestein_single_back_len693_dim1_sp_op_CI_CI
    .private_segment_fixed_size: 0
    .sgpr_count:     18
    .sgpr_spill_count: 0
    .symbol:         bluestein_single_back_len693_dim1_sp_op_CI_CI.kd
    .uniform_work_group_size: 1
    .uses_dynamic_stack: false
    .vgpr_count:     131
    .vgpr_spill_count: 0
    .wavefront_size: 32
    .workgroup_processor_mode: 1
amdhsa.target:   amdgcn-amd-amdhsa--gfx1030
amdhsa.version:
  - 1
  - 2
...

	.end_amdgpu_metadata
